;; amdgpu-corpus repo=zjin-lcf/HeCBench kind=compiled arch=gfx1250 opt=O3
	.amdgcn_target "amdgcn-amd-amdhsa--gfx1250"
	.amdhsa_code_object_version 6
	.text
	.protected	_Z13chemv_kernel0P12ComplexFloatS0_S0_ffff ; -- Begin function _Z13chemv_kernel0P12ComplexFloatS0_S0_ffff
	.globl	_Z13chemv_kernel0P12ComplexFloatS0_S0_ffff
	.p2align	8
	.type	_Z13chemv_kernel0P12ComplexFloatS0_S0_ffff,@function
_Z13chemv_kernel0P12ComplexFloatS0_S0_ffff: ; @_Z13chemv_kernel0P12ComplexFloatS0_S0_ffff
; %bb.0:
	s_bfe_u32 s2, ttmp6, 0x4000c
	s_and_b32 s3, ttmp6, 15
	s_add_co_i32 s2, s2, 1
	s_getreg_b32 s4, hwreg(HW_REG_IB_STS2, 6, 4)
	s_mul_i32 s2, ttmp9, s2
	s_mov_b32 s14, 0
	s_add_co_i32 s3, s3, s2
	s_cmp_eq_u32 s4, 0
	s_cselect_b32 s2, ttmp9, s3
	s_delay_alu instid0(SALU_CYCLE_1)
	s_cmp_lt_i32 s2, 0
	s_cbranch_scc1 .LBB0_8
; %bb.1:
	s_clause 0x2
	s_load_b64 s[12:13], s[0:1], 0x10
	s_load_b128 s[4:7], s[0:1], 0x0
	s_load_b128 s[8:11], s[0:1], 0x18
	v_mul_u32_u24_e32 v2, 0x173, v0
	s_wait_xcnt 0x0
	s_lshl_b32 s0, s2, 5
	s_delay_alu instid0(SALU_CYCLE_1) | instskip(SKIP_3) | instid1(VALU_DEP_2)
	v_dual_mov_b32 v1, 0 :: v_dual_add_nc_u32 v0, s0, v0
	s_or_b32 s0, s0, 30
	v_mad_u32 v4, 0x2e60, s2, v2
	s_min_i32 s15, s0, 0x170
	v_dual_mov_b32 v5, v1 :: v_dual_add_nc_u32 v10, -1, v0
	v_lshlrev_b64_e32 v[6:7], 3, v[0:1]
	v_mov_b32_e32 v11, v0
	v_cmp_gt_i32_e32 vcc_lo, 0x172, v0
	s_wait_kmcnt 0x0
	s_delay_alu instid0(VALU_DEP_3)
	v_add_nc_u64_e32 v[2:3], s[12:13], v[6:7]
	v_add_nc_u64_e32 v[6:7], s[6:7], v[6:7]
	v_lshl_add_u64 v[4:5], v[4:5], 3, s[4:5]
	s_mov_b32 s2, s11
	s_mov_b32 s3, s11
	;; [unrolled: 1-line block ×5, first 2 shown]
	s_branch .LBB0_3
.LBB0_2:                                ;   in Loop: Header=BB0_3 Depth=1
	s_or_b32 exec_lo, exec_lo, s16
	v_subrev_nc_u32_e32 v10, 32, v10
	v_add_nc_u32_e32 v11, 0x2e40, v11
	s_add_co_i32 s14, s14, 32
	s_add_nc_u64 s[6:7], s[6:7], 0x100
	s_cmp_gt_i32 s14, s15
	s_wait_storecnt 0x0
	s_barrier_signal -1
	s_barrier_wait -1
	s_cbranch_scc1 .LBB0_8
.LBB0_3:                                ; =>This Loop Header: Depth=1
                                        ;     Child Loop BB0_7 Depth 2
	s_cmp_eq_u32 s14, 0
	s_cselect_b32 s0, -1, 0
	s_delay_alu instid0(SALU_CYCLE_1) | instskip(NEXT) | instid1(SALU_CYCLE_1)
	s_and_b32 s1, vcc_lo, s0
	s_and_saveexec_b32 s0, s1
	s_cbranch_execz .LBB0_5
; %bb.4:                                ;   in Loop: Header=BB0_3 Depth=1
	global_load_b64 v[8:9], v[2:3], off
	v_mov_b64_e32 v[12:13], s[10:11]
	v_mov_b64_e32 v[14:15], s[2:3]
	;; [unrolled: 1-line block ×3, first 2 shown]
	s_wait_loadcnt 0x0
	s_delay_alu instid0(VALU_DEP_3) | instskip(NEXT) | instid1(VALU_DEP_1)
	v_pk_mul_f32 v[12:13], v[12:13], v[8:9] op_sel:[0,1] op_sel_hi:[1,0]
	v_pk_fma_f32 v[16:17], v[14:15], v[8:9], v[12:13]
	v_pk_fma_f32 v[8:9], v[14:15], v[8:9], v[12:13] neg_lo:[0,0,1] neg_hi:[0,0,1]
	s_delay_alu instid0(VALU_DEP_2)
	v_mov_b32_e32 v9, v17
	global_store_b64 v[2:3], v[8:9], off
	global_load_b32 v12, v[4:5], off
	global_load_b64 v[14:15], v[6:7], off
	s_wait_loadcnt 0x1
	v_pk_mul_f32 v[12:13], v[18:19], v[12:13] op_sel_hi:[1,0]
	s_wait_loadcnt 0x0
	s_delay_alu instid0(VALU_DEP_1) | instskip(NEXT) | instid1(VALU_DEP_1)
	v_dual_mul_f32 v16, v13, v14 :: v_dual_mul_f32 v18, v13, v15
	v_pk_fma_f32 v[20:21], v[12:13], v[14:15], v[16:17] op_sel:[1,0,0] op_sel_hi:[0,1,0]
	s_delay_alu instid0(VALU_DEP_2) | instskip(SKIP_1) | instid1(VALU_DEP_2)
	v_pk_fma_f32 v[12:13], v[12:13], v[14:15], v[18:19] op_sel_hi:[1,1,0] neg_lo:[0,0,1] neg_hi:[0,0,1]
	s_wait_xcnt 0x2
	v_dual_mov_b32 v13, v17 :: v_dual_mov_b32 v9, v21
	s_delay_alu instid0(VALU_DEP_1)
	v_pk_add_f32 v[8:9], v[8:9], v[12:13]
	global_store_b64 v[2:3], v[8:9], off
.LBB0_5:                                ;   in Loop: Header=BB0_3 Depth=1
	s_wait_xcnt 0x0
	s_or_b32 exec_lo, exec_lo, s0
	v_sub_nc_u32_e32 v8, s14, v0
	s_delay_alu instid0(VALU_DEP_1) | instskip(SKIP_1) | instid1(SALU_CYCLE_1)
	v_cmp_gt_i32_e64 s0, 0, v8
	s_and_b32 s0, s0, vcc_lo
	s_and_saveexec_b32 s16, s0
	s_cbranch_execz .LBB0_2
; %bb.6:                                ;   in Loop: Header=BB0_3 Depth=1
	global_load_b64 v[8:9], v[2:3], off
	v_med3_i32 v12, v10, 0, 31
	v_mov_b32_e32 v13, v11
	s_mov_b32 s17, 0
	s_mov_b64 s[0:1], s[6:7]
	s_delay_alu instid0(VALU_DEP_2)
	v_not_b32_e32 v12, v12
.LBB0_7:                                ;   Parent Loop BB0_3 Depth=1
                                        ; =>  This Inner Loop Header: Depth=2
	global_load_b64 v[14:15], v13, s[4:5] scale_offset
	global_load_b64 v[16:17], v1, s[0:1]
	v_mov_b64_e32 v[18:19], s[8:9]
	v_mov_b64_e32 v[20:21], s[12:13]
	v_add_co_u32 v12, s18, v12, 1
	s_wait_xcnt 0x1
	v_add_nc_u32_e32 v13, 0x172, v13
	s_or_b32 s17, s18, s17
	s_wait_xcnt 0x0
	s_add_nc_u64 s[0:1], s[0:1], 8
	s_wait_loadcnt 0x1
	v_pk_mul_f32 v[18:19], v[18:19], v[14:15]
	v_pk_mul_f32 v[14:15], v[20:21], v[14:15]
	s_delay_alu instid0(VALU_DEP_2) | instskip(NEXT) | instid1(VALU_DEP_2)
	v_add_f32_e32 v18, v18, v19
	v_pk_add_f32 v[14:15], v[14:15], v[14:15] op_sel:[0,1] op_sel_hi:[0,1] neg_lo:[0,1] neg_hi:[0,1]
	s_wait_loadcnt 0x0
	s_delay_alu instid0(VALU_DEP_2) | instskip(NEXT) | instid1(VALU_DEP_1)
	v_pk_mul_f32 v[18:19], v[18:19], v[16:17] op_sel:[0,1] op_sel_hi:[0,0]
	v_pk_fma_f32 v[20:21], v[16:17], v[14:15], v[18:19]
	v_pk_fma_f32 v[14:15], v[16:17], v[14:15], v[18:19] neg_lo:[0,0,1] neg_hi:[0,0,1]
	s_delay_alu instid0(VALU_DEP_2) | instskip(NEXT) | instid1(VALU_DEP_1)
	v_mov_b32_e32 v15, v21
	v_pk_add_f32 v[8:9], v[8:9], v[14:15]
	global_store_b64 v[2:3], v[8:9], off
	s_wait_xcnt 0x0
	s_and_not1_b32 exec_lo, exec_lo, s17
	s_cbranch_execnz .LBB0_7
	s_branch .LBB0_2
.LBB0_8:
	s_endpgm
	.section	.rodata,"a",@progbits
	.p2align	6, 0x0
	.amdhsa_kernel _Z13chemv_kernel0P12ComplexFloatS0_S0_ffff
		.amdhsa_group_segment_fixed_size 0
		.amdhsa_private_segment_fixed_size 0
		.amdhsa_kernarg_size 40
		.amdhsa_user_sgpr_count 2
		.amdhsa_user_sgpr_dispatch_ptr 0
		.amdhsa_user_sgpr_queue_ptr 0
		.amdhsa_user_sgpr_kernarg_segment_ptr 1
		.amdhsa_user_sgpr_dispatch_id 0
		.amdhsa_user_sgpr_kernarg_preload_length 0
		.amdhsa_user_sgpr_kernarg_preload_offset 0
		.amdhsa_user_sgpr_private_segment_size 0
		.amdhsa_wavefront_size32 1
		.amdhsa_uses_dynamic_stack 0
		.amdhsa_enable_private_segment 0
		.amdhsa_system_sgpr_workgroup_id_x 1
		.amdhsa_system_sgpr_workgroup_id_y 0
		.amdhsa_system_sgpr_workgroup_id_z 0
		.amdhsa_system_sgpr_workgroup_info 0
		.amdhsa_system_vgpr_workitem_id 0
		.amdhsa_next_free_vgpr 22
		.amdhsa_next_free_sgpr 19
		.amdhsa_named_barrier_count 0
		.amdhsa_reserve_vcc 1
		.amdhsa_float_round_mode_32 0
		.amdhsa_float_round_mode_16_64 0
		.amdhsa_float_denorm_mode_32 3
		.amdhsa_float_denorm_mode_16_64 3
		.amdhsa_fp16_overflow 0
		.amdhsa_memory_ordered 1
		.amdhsa_forward_progress 1
		.amdhsa_inst_pref_size 6
		.amdhsa_round_robin_scheduling 0
		.amdhsa_exception_fp_ieee_invalid_op 0
		.amdhsa_exception_fp_denorm_src 0
		.amdhsa_exception_fp_ieee_div_zero 0
		.amdhsa_exception_fp_ieee_overflow 0
		.amdhsa_exception_fp_ieee_underflow 0
		.amdhsa_exception_fp_ieee_inexact 0
		.amdhsa_exception_int_div_zero 0
	.end_amdhsa_kernel
	.text
.Lfunc_end0:
	.size	_Z13chemv_kernel0P12ComplexFloatS0_S0_ffff, .Lfunc_end0-_Z13chemv_kernel0P12ComplexFloatS0_S0_ffff
                                        ; -- End function
	.set _Z13chemv_kernel0P12ComplexFloatS0_S0_ffff.num_vgpr, 22
	.set _Z13chemv_kernel0P12ComplexFloatS0_S0_ffff.num_agpr, 0
	.set _Z13chemv_kernel0P12ComplexFloatS0_S0_ffff.numbered_sgpr, 19
	.set _Z13chemv_kernel0P12ComplexFloatS0_S0_ffff.num_named_barrier, 0
	.set _Z13chemv_kernel0P12ComplexFloatS0_S0_ffff.private_seg_size, 0
	.set _Z13chemv_kernel0P12ComplexFloatS0_S0_ffff.uses_vcc, 1
	.set _Z13chemv_kernel0P12ComplexFloatS0_S0_ffff.uses_flat_scratch, 0
	.set _Z13chemv_kernel0P12ComplexFloatS0_S0_ffff.has_dyn_sized_stack, 0
	.set _Z13chemv_kernel0P12ComplexFloatS0_S0_ffff.has_recursion, 0
	.set _Z13chemv_kernel0P12ComplexFloatS0_S0_ffff.has_indirect_call, 0
	.section	.AMDGPU.csdata,"",@progbits
; Kernel info:
; codeLenInByte = 724
; TotalNumSgprs: 21
; NumVgprs: 22
; ScratchSize: 0
; MemoryBound: 0
; FloatMode: 240
; IeeeMode: 1
; LDSByteSize: 0 bytes/workgroup (compile time only)
; SGPRBlocks: 0
; VGPRBlocks: 1
; NumSGPRsForWavesPerEU: 21
; NumVGPRsForWavesPerEU: 22
; NamedBarCnt: 0
; Occupancy: 16
; WaveLimiterHint : 0
; COMPUTE_PGM_RSRC2:SCRATCH_EN: 0
; COMPUTE_PGM_RSRC2:USER_SGPR: 2
; COMPUTE_PGM_RSRC2:TRAP_HANDLER: 0
; COMPUTE_PGM_RSRC2:TGID_X_EN: 1
; COMPUTE_PGM_RSRC2:TGID_Y_EN: 0
; COMPUTE_PGM_RSRC2:TGID_Z_EN: 0
; COMPUTE_PGM_RSRC2:TIDIG_COMP_CNT: 0
	.text
	.protected	_Z13chemv_kernel1P12ComplexFloatS0_S0_ff ; -- Begin function _Z13chemv_kernel1P12ComplexFloatS0_S0_ff
	.globl	_Z13chemv_kernel1P12ComplexFloatS0_S0_ff
	.p2align	8
	.type	_Z13chemv_kernel1P12ComplexFloatS0_S0_ff,@function
_Z13chemv_kernel1P12ComplexFloatS0_S0_ff: ; @_Z13chemv_kernel1P12ComplexFloatS0_S0_ff
; %bb.0:
	s_bfe_u32 s2, ttmp6, 0x4000c
	s_and_b32 s3, ttmp6, 15
	s_add_co_i32 s2, s2, 1
	s_getreg_b32 s4, hwreg(HW_REG_IB_STS2, 6, 4)
	s_mul_i32 s2, ttmp9, s2
	s_delay_alu instid0(SALU_CYCLE_1) | instskip(SKIP_2) | instid1(SALU_CYCLE_1)
	s_add_co_i32 s3, s3, s2
	s_cmp_eq_u32 s4, 0
	s_cselect_b32 s3, ttmp9, s3
	s_mul_i32 s2, s3, 0x16e0
	s_mul_i32 s13, s3, 0x1700
	s_min_i32 s12, s2, 0xf100
	s_delay_alu instid0(SALU_CYCLE_1) | instskip(NEXT) | instid1(SALU_CYCLE_1)
	s_addk_co_i32 s12, 0x1780
	s_cmp_gt_i32 s13, s12
	s_cbranch_scc1 .LBB1_6
; %bb.1:
	s_load_b256 s[4:11], s[0:1], 0x0
	s_wait_xcnt 0x0
	s_lshl_b32 s1, s3, 5
	v_mul_u32_u24_e32 v1, 0xbb, v0
	v_add_nc_u32_e32 v2, s1, v0
	v_mul_u32_u24_e32 v4, 0xb7, v0
	v_mul_u32_u24_e32 v8, 0xb8, v0
	v_mad_u32_u24 v10, 0xb8, v0, s13
	v_mad_u32 v9, 0x2e60, s3, v1
	s_delay_alu instid0(VALU_DEP_4) | instskip(SKIP_2) | instid1(VALU_DEP_2)
	v_dual_ashrrev_i32 v3, 31, v2 :: v_dual_sub_nc_u32 v12, s1, v4
	v_mad_u32_u24 v11, 0xb7, v0, s2
	s_wait_kmcnt 0x0
	v_lshl_add_u64 v[0:1], v[2:3], 3, s[8:9]
	s_mov_b32 s0, s11
	s_mov_b32 s1, s10
	s_add_nc_u64 s[2:3], s[6:7], 8
	s_add_nc_u64 s[4:5], s[4:5], 8
	s_branch .LBB1_3
.LBB1_2:                                ;   in Loop: Header=BB1_3 Depth=1
	s_or_b32 exec_lo, exec_lo, s6
	v_subrev_nc_u32_e32 v8, 32, v8
	v_dual_add_nc_u32 v12, 32, v12 :: v_dual_add_nc_u32 v9, 32, v9
	s_add_co_i32 s6, s13, 32
	s_cmp_ge_i32 s13, s12
	s_mov_b32 s13, s6
	s_wait_storecnt 0x0
	s_barrier_signal -1
	s_barrier_wait -1
	s_cbranch_scc1 .LBB1_6
.LBB1_3:                                ; =>This Loop Header: Depth=1
                                        ;     Child Loop BB1_5 Depth 2
	v_subrev_nc_u32_e32 v2, s13, v11
	v_subrev_nc_u32_e32 v3, s13, v10
	s_mov_b32 s6, exec_lo
	s_delay_alu instid0(VALU_DEP_2) | instskip(NEXT) | instid1(VALU_DEP_2)
	v_min_i32_e32 v2, 0xfffffeaf, v2
	v_max_i32_e32 v3, 0, v3
	s_delay_alu instid0(VALU_DEP_2) | instskip(NEXT) | instid1(VALU_DEP_1)
	v_add_nc_u32_e32 v13, 0x170, v2
	v_cmpx_le_i32_e64 v3, v13
	s_cbranch_execz .LBB1_2
; %bb.4:                                ;   in Loop: Header=BB1_3 Depth=1
	global_load_b64 v[2:3], v[0:1], off
	v_max_i32_e32 v14, 0, v8
	s_mov_b32 s7, 0
	s_delay_alu instid0(VALU_DEP_1) | instskip(NEXT) | instid1(VALU_DEP_1)
	v_add_nc_u32_e32 v6, v14, v9
	v_dual_ashrrev_i32 v7, 31, v6 :: v_dual_add_nc_u32 v4, v14, v12
	s_delay_alu instid0(VALU_DEP_1) | instskip(NEXT) | instid1(VALU_DEP_2)
	v_dual_add_nc_u32 v14, -1, v14 :: v_dual_ashrrev_i32 v5, 31, v4
	v_lshl_add_u64 v[6:7], v[6:7], 3, s[4:5]
	s_delay_alu instid0(VALU_DEP_2)
	v_lshl_add_u64 v[4:5], v[4:5], 3, s[2:3]
.LBB1_5:                                ;   Parent Loop BB1_3 Depth=1
                                        ; =>  This Inner Loop Header: Depth=2
	global_load_b64 v[16:17], v[6:7], off
	global_load_b64 v[18:19], v[4:5], off
	v_mov_b64_e32 v[20:21], s[10:11]
	v_mov_b64_e32 v[22:23], s[0:1]
	s_wait_xcnt 0x0
	v_add_nc_u64_e32 v[4:5], 8, v[4:5]
	v_add_nc_u64_e32 v[6:7], 8, v[6:7]
	v_add_nc_u32_e32 v14, 1, v14
	s_delay_alu instid0(VALU_DEP_1) | instskip(SKIP_4) | instid1(VALU_DEP_2)
	v_cmp_ge_i32_e32 vcc_lo, v14, v13
	s_or_b32 s7, vcc_lo, s7
	s_wait_loadcnt 0x1
	v_pk_mul_f32 v[20:21], v[20:21], v[16:17]
	v_pk_mul_f32 v[16:17], v[22:23], v[16:17]
	v_pk_add_f32 v[20:21], v[20:21], v[20:21] op_sel:[0,1] op_sel_hi:[0,1] neg_lo:[0,1] neg_hi:[0,1]
	s_delay_alu instid0(VALU_DEP_2) | instskip(SKIP_1) | instid1(VALU_DEP_2)
	v_add_f32_e32 v16, v16, v17
	s_wait_loadcnt 0x0
	v_pk_mul_f32 v[20:21], v[20:21], v[18:19] op_sel:[0,1] op_sel_hi:[1,0]
	s_delay_alu instid0(VALU_DEP_1) | instskip(SKIP_1) | instid1(VALU_DEP_2)
	v_pk_fma_f32 v[22:23], v[18:19], v[16:17], v[20:21] op_sel_hi:[1,0,1]
	v_pk_fma_f32 v[16:17], v[18:19], v[16:17], v[20:21] op_sel_hi:[1,0,1] neg_lo:[0,0,1] neg_hi:[0,0,1]
	v_mov_b32_e32 v17, v23
	s_delay_alu instid0(VALU_DEP_1)
	v_pk_add_f32 v[2:3], v[2:3], v[16:17]
	global_store_b64 v[0:1], v[2:3], off
	s_wait_xcnt 0x0
	s_and_not1_b32 exec_lo, exec_lo, s7
	s_cbranch_execnz .LBB1_5
	s_branch .LBB1_2
.LBB1_6:
	s_endpgm
	.section	.rodata,"a",@progbits
	.p2align	6, 0x0
	.amdhsa_kernel _Z13chemv_kernel1P12ComplexFloatS0_S0_ff
		.amdhsa_group_segment_fixed_size 0
		.amdhsa_private_segment_fixed_size 0
		.amdhsa_kernarg_size 32
		.amdhsa_user_sgpr_count 2
		.amdhsa_user_sgpr_dispatch_ptr 0
		.amdhsa_user_sgpr_queue_ptr 0
		.amdhsa_user_sgpr_kernarg_segment_ptr 1
		.amdhsa_user_sgpr_dispatch_id 0
		.amdhsa_user_sgpr_kernarg_preload_length 0
		.amdhsa_user_sgpr_kernarg_preload_offset 0
		.amdhsa_user_sgpr_private_segment_size 0
		.amdhsa_wavefront_size32 1
		.amdhsa_uses_dynamic_stack 0
		.amdhsa_enable_private_segment 0
		.amdhsa_system_sgpr_workgroup_id_x 1
		.amdhsa_system_sgpr_workgroup_id_y 0
		.amdhsa_system_sgpr_workgroup_id_z 0
		.amdhsa_system_sgpr_workgroup_info 0
		.amdhsa_system_vgpr_workitem_id 0
		.amdhsa_next_free_vgpr 24
		.amdhsa_next_free_sgpr 14
		.amdhsa_named_barrier_count 0
		.amdhsa_reserve_vcc 1
		.amdhsa_float_round_mode_32 0
		.amdhsa_float_round_mode_16_64 0
		.amdhsa_float_denorm_mode_32 3
		.amdhsa_float_denorm_mode_16_64 3
		.amdhsa_fp16_overflow 0
		.amdhsa_memory_ordered 1
		.amdhsa_forward_progress 1
		.amdhsa_inst_pref_size 5
		.amdhsa_round_robin_scheduling 0
		.amdhsa_exception_fp_ieee_invalid_op 0
		.amdhsa_exception_fp_denorm_src 0
		.amdhsa_exception_fp_ieee_div_zero 0
		.amdhsa_exception_fp_ieee_overflow 0
		.amdhsa_exception_fp_ieee_underflow 0
		.amdhsa_exception_fp_ieee_inexact 0
		.amdhsa_exception_int_div_zero 0
	.end_amdhsa_kernel
	.text
.Lfunc_end1:
	.size	_Z13chemv_kernel1P12ComplexFloatS0_S0_ff, .Lfunc_end1-_Z13chemv_kernel1P12ComplexFloatS0_S0_ff
                                        ; -- End function
	.set _Z13chemv_kernel1P12ComplexFloatS0_S0_ff.num_vgpr, 24
	.set _Z13chemv_kernel1P12ComplexFloatS0_S0_ff.num_agpr, 0
	.set _Z13chemv_kernel1P12ComplexFloatS0_S0_ff.numbered_sgpr, 14
	.set _Z13chemv_kernel1P12ComplexFloatS0_S0_ff.num_named_barrier, 0
	.set _Z13chemv_kernel1P12ComplexFloatS0_S0_ff.private_seg_size, 0
	.set _Z13chemv_kernel1P12ComplexFloatS0_S0_ff.uses_vcc, 1
	.set _Z13chemv_kernel1P12ComplexFloatS0_S0_ff.uses_flat_scratch, 0
	.set _Z13chemv_kernel1P12ComplexFloatS0_S0_ff.has_dyn_sized_stack, 0
	.set _Z13chemv_kernel1P12ComplexFloatS0_S0_ff.has_recursion, 0
	.set _Z13chemv_kernel1P12ComplexFloatS0_S0_ff.has_indirect_call, 0
	.section	.AMDGPU.csdata,"",@progbits
; Kernel info:
; codeLenInByte = 560
; TotalNumSgprs: 16
; NumVgprs: 24
; ScratchSize: 0
; MemoryBound: 0
; FloatMode: 240
; IeeeMode: 1
; LDSByteSize: 0 bytes/workgroup (compile time only)
; SGPRBlocks: 0
; VGPRBlocks: 1
; NumSGPRsForWavesPerEU: 16
; NumVGPRsForWavesPerEU: 24
; NamedBarCnt: 0
; Occupancy: 16
; WaveLimiterHint : 0
; COMPUTE_PGM_RSRC2:SCRATCH_EN: 0
; COMPUTE_PGM_RSRC2:USER_SGPR: 2
; COMPUTE_PGM_RSRC2:TRAP_HANDLER: 0
; COMPUTE_PGM_RSRC2:TGID_X_EN: 1
; COMPUTE_PGM_RSRC2:TGID_Y_EN: 0
; COMPUTE_PGM_RSRC2:TGID_Z_EN: 0
; COMPUTE_PGM_RSRC2:TIDIG_COMP_CNT: 0
	.text
	.p2alignl 7, 3214868480
	.fill 96, 4, 3214868480
	.section	.AMDGPU.gpr_maximums,"",@progbits
	.set amdgpu.max_num_vgpr, 0
	.set amdgpu.max_num_agpr, 0
	.set amdgpu.max_num_sgpr, 0
	.text
	.type	__hip_cuid_83d2e852c72f84d3,@object ; @__hip_cuid_83d2e852c72f84d3
	.section	.bss,"aw",@nobits
	.globl	__hip_cuid_83d2e852c72f84d3
__hip_cuid_83d2e852c72f84d3:
	.byte	0                               ; 0x0
	.size	__hip_cuid_83d2e852c72f84d3, 1

	.ident	"AMD clang version 22.0.0git (https://github.com/RadeonOpenCompute/llvm-project roc-7.2.4 26084 f58b06dce1f9c15707c5f808fd002e18c2accf7e)"
	.section	".note.GNU-stack","",@progbits
	.addrsig
	.addrsig_sym __hip_cuid_83d2e852c72f84d3
	.amdgpu_metadata
---
amdhsa.kernels:
  - .args:
      - .address_space:  global
        .offset:         0
        .size:           8
        .value_kind:     global_buffer
      - .address_space:  global
        .offset:         8
        .size:           8
        .value_kind:     global_buffer
      - .address_space:  global
        .offset:         16
        .size:           8
        .value_kind:     global_buffer
      - .offset:         24
        .size:           4
        .value_kind:     by_value
      - .offset:         28
        .size:           4
        .value_kind:     by_value
      - .offset:         32
        .size:           4
        .value_kind:     by_value
      - .offset:         36
        .size:           4
        .value_kind:     by_value
    .group_segment_fixed_size: 0
    .kernarg_segment_align: 8
    .kernarg_segment_size: 40
    .language:       OpenCL C
    .language_version:
      - 2
      - 0
    .max_flat_workgroup_size: 1024
    .name:           _Z13chemv_kernel0P12ComplexFloatS0_S0_ffff
    .private_segment_fixed_size: 0
    .sgpr_count:     21
    .sgpr_spill_count: 0
    .symbol:         _Z13chemv_kernel0P12ComplexFloatS0_S0_ffff.kd
    .uniform_work_group_size: 1
    .uses_dynamic_stack: false
    .vgpr_count:     22
    .vgpr_spill_count: 0
    .wavefront_size: 32
  - .args:
      - .address_space:  global
        .offset:         0
        .size:           8
        .value_kind:     global_buffer
      - .address_space:  global
        .offset:         8
        .size:           8
        .value_kind:     global_buffer
      - .address_space:  global
        .offset:         16
        .size:           8
        .value_kind:     global_buffer
      - .offset:         24
        .size:           4
        .value_kind:     by_value
      - .offset:         28
        .size:           4
        .value_kind:     by_value
    .group_segment_fixed_size: 0
    .kernarg_segment_align: 8
    .kernarg_segment_size: 32
    .language:       OpenCL C
    .language_version:
      - 2
      - 0
    .max_flat_workgroup_size: 1024
    .name:           _Z13chemv_kernel1P12ComplexFloatS0_S0_ff
    .private_segment_fixed_size: 0
    .sgpr_count:     16
    .sgpr_spill_count: 0
    .symbol:         _Z13chemv_kernel1P12ComplexFloatS0_S0_ff.kd
    .uniform_work_group_size: 1
    .uses_dynamic_stack: false
    .vgpr_count:     24
    .vgpr_spill_count: 0
    .wavefront_size: 32
amdhsa.target:   amdgcn-amd-amdhsa--gfx1250
amdhsa.version:
  - 1
  - 2
...

	.end_amdgpu_metadata
